;; amdgpu-corpus repo=ROCm/rocFFT kind=compiled arch=gfx906 opt=O3
	.text
	.amdgcn_target "amdgcn-amd-amdhsa--gfx906"
	.amdhsa_code_object_version 6
	.protected	fft_rtc_back_len224_factors_8_7_4_wgs_504_tpt_56_dp_op_CI_CI_sbcc_twdbase8_2step_dirReg_intrinsicRead ; -- Begin function fft_rtc_back_len224_factors_8_7_4_wgs_504_tpt_56_dp_op_CI_CI_sbcc_twdbase8_2step_dirReg_intrinsicRead
	.globl	fft_rtc_back_len224_factors_8_7_4_wgs_504_tpt_56_dp_op_CI_CI_sbcc_twdbase8_2step_dirReg_intrinsicRead
	.p2align	8
	.type	fft_rtc_back_len224_factors_8_7_4_wgs_504_tpt_56_dp_op_CI_CI_sbcc_twdbase8_2step_dirReg_intrinsicRead,@function
fft_rtc_back_len224_factors_8_7_4_wgs_504_tpt_56_dp_op_CI_CI_sbcc_twdbase8_2step_dirReg_intrinsicRead: ; @fft_rtc_back_len224_factors_8_7_4_wgs_504_tpt_56_dp_op_CI_CI_sbcc_twdbase8_2step_dirReg_intrinsicRead
; %bb.0:
	s_load_dwordx4 s[0:3], s[4:5], 0x18
	s_load_dwordx2 s[26:27], s[4:5], 0x28
	s_mov_b32 s7, 0
	s_mov_b64 s[30:31], 0
	s_waitcnt lgkmcnt(0)
	s_load_dwordx2 s[24:25], s[0:1], 0x8
	s_waitcnt lgkmcnt(0)
	s_add_u32 s8, s24, -1
	s_addc_u32 s9, s25, -1
	s_add_u32 s10, 0, 0x71c4fc00
	s_addc_u32 s11, 0, 0x7c
	s_mul_hi_u32 s13, s10, -9
	s_add_i32 s11, s11, 0x1c71c6a0
	s_sub_i32 s13, s13, s10
	s_mul_i32 s16, s11, -9
	s_mul_i32 s12, s10, -9
	s_add_i32 s13, s13, s16
	s_mul_hi_u32 s14, s11, s12
	s_mul_i32 s15, s11, s12
	s_mul_i32 s17, s10, s13
	s_mul_hi_u32 s12, s10, s12
	s_mul_hi_u32 s16, s10, s13
	s_add_u32 s12, s12, s17
	s_addc_u32 s16, 0, s16
	s_add_u32 s12, s12, s15
	s_mul_hi_u32 s17, s11, s13
	s_addc_u32 s12, s16, s14
	s_addc_u32 s14, s17, 0
	s_mul_i32 s13, s11, s13
	s_add_u32 s12, s12, s13
	v_mov_b32_e32 v1, s12
	s_addc_u32 s13, 0, s14
	v_add_co_u32_e32 v1, vcc, s10, v1
	s_cmp_lg_u64 vcc, 0
	s_addc_u32 s10, s11, s13
	v_readfirstlane_b32 s13, v1
	s_mul_i32 s12, s8, s10
	s_mul_hi_u32 s14, s8, s13
	s_mul_hi_u32 s11, s8, s10
	s_add_u32 s12, s14, s12
	s_addc_u32 s11, 0, s11
	s_mul_hi_u32 s15, s9, s13
	s_mul_i32 s13, s9, s13
	s_add_u32 s12, s12, s13
	s_mul_hi_u32 s14, s9, s10
	s_addc_u32 s11, s11, s15
	s_addc_u32 s12, s14, 0
	s_mul_i32 s10, s9, s10
	s_add_u32 s10, s11, s10
	s_addc_u32 s11, 0, s12
	s_add_u32 s12, s10, 1
	s_addc_u32 s13, s11, 0
	s_add_u32 s14, s10, 2
	s_mul_i32 s16, s11, 9
	s_mul_hi_u32 s17, s10, 9
	s_addc_u32 s15, s11, 0
	s_add_i32 s17, s17, s16
	s_mul_i32 s16, s10, 9
	v_mov_b32_e32 v1, s16
	v_sub_co_u32_e32 v1, vcc, s8, v1
	s_cmp_lg_u64 vcc, 0
	s_subb_u32 s8, s9, s17
	v_subrev_co_u32_e32 v2, vcc, 9, v1
	s_cmp_lg_u64 vcc, 0
	s_subb_u32 s9, s8, 0
	v_readfirstlane_b32 s16, v2
	s_cmp_gt_u32 s16, 8
	s_cselect_b32 s16, -1, 0
	s_cmp_eq_u32 s9, 0
	s_cselect_b32 s9, s16, -1
	s_cmp_lg_u32 s9, 0
	s_cselect_b32 s9, s14, s12
	s_cselect_b32 s12, s15, s13
	v_readfirstlane_b32 s13, v1
	s_cmp_gt_u32 s13, 8
	s_cselect_b32 s13, -1, 0
	s_cmp_eq_u32 s8, 0
	s_cselect_b32 s8, s13, -1
	s_cmp_lg_u32 s8, 0
	s_cselect_b32 s9, s9, s10
	s_cselect_b32 s8, s12, s11
	s_add_u32 s36, s9, 1
	s_addc_u32 s37, s8, 0
	v_mov_b32_e32 v1, s36
	v_mov_b32_e32 v2, s37
	v_cmp_lt_u64_e32 vcc, s[6:7], v[1:2]
	s_cbranch_vccnz .LBB0_2
; %bb.1:
	v_cvt_f32_u32_e32 v1, s36
	s_sub_i32 s8, 0, s36
	s_mov_b32 s31, s7
	v_rcp_iflag_f32_e32 v1, v1
	v_mul_f32_e32 v1, 0x4f7ffffe, v1
	v_cvt_u32_f32_e32 v1, v1
	v_readfirstlane_b32 s9, v1
	s_mul_i32 s8, s8, s9
	s_mul_hi_u32 s8, s9, s8
	s_add_i32 s9, s9, s8
	s_mul_hi_u32 s8, s6, s9
	s_mul_i32 s10, s8, s36
	s_sub_i32 s10, s6, s10
	s_add_i32 s9, s8, 1
	s_sub_i32 s11, s10, s36
	s_cmp_ge_u32 s10, s36
	s_cselect_b32 s8, s9, s8
	s_cselect_b32 s10, s11, s10
	s_add_i32 s9, s8, 1
	s_cmp_ge_u32 s10, s36
	s_cselect_b32 s30, s9, s8
.LBB0_2:
	s_load_dwordx4 s[12:15], s[4:5], 0x60
	s_load_dwordx4 s[20:23], s[2:3], 0x0
	;; [unrolled: 1-line block ×3, first 2 shown]
	s_load_dwordx2 s[34:35], s[4:5], 0x0
	s_load_dwordx4 s[16:19], s[4:5], 0x8
	s_mul_i32 s4, s30, s37
	s_mul_hi_u32 s5, s30, s36
	s_add_i32 s5, s5, s4
	s_mul_i32 s4, s30, s36
	s_sub_u32 s33, s6, s4
	s_subb_u32 s4, 0, s5
	s_mul_i32 s4, s4, 9
	s_waitcnt lgkmcnt(0)
	s_mul_hi_u32 s21, s33, 9
	s_add_i32 s21, s21, s4
	s_mul_i32 s33, s33, 9
	s_mul_i32 s4, s22, s21
	s_mul_hi_u32 s5, s22, s33
	s_add_i32 s4, s5, s4
	s_mul_i32 s5, s23, s33
	s_add_i32 s50, s4, s5
	s_mul_i32 s4, s10, s21
	s_mul_hi_u32 s5, s10, s33
	s_add_i32 s4, s5, s4
	s_mul_i32 s5, s11, s33
	s_add_i32 s29, s4, s5
	v_cmp_lt_u64_e64 s[4:5], s[18:19], 3
	s_mul_i32 s23, s22, s33
	s_mul_i32 s28, s10, s33
	s_and_b64 vcc, exec, s[4:5]
	s_cbranch_vccnz .LBB0_12
; %bb.3:
	s_add_u32 s4, s26, 16
	s_addc_u32 s5, s27, 0
	s_add_u32 s38, s2, 16
	s_addc_u32 s39, s3, 0
	s_add_u32 s40, s0, 16
	v_mov_b32_e32 v1, s18
	s_addc_u32 s41, s1, 0
	s_mov_b64 s[42:43], 2
	s_mov_b32 s44, 0
	v_mov_b32_e32 v2, s19
.LBB0_4:                                ; =>This Inner Loop Header: Depth=1
	s_load_dwordx2 s[46:47], s[40:41], 0x0
	s_waitcnt lgkmcnt(0)
	s_or_b64 s[0:1], s[30:31], s[46:47]
	s_mov_b32 s45, s1
	s_cmp_lg_u64 s[44:45], 0
	s_cbranch_scc0 .LBB0_9
; %bb.5:                                ;   in Loop: Header=BB0_4 Depth=1
	v_cvt_f32_u32_e32 v3, s46
	v_cvt_f32_u32_e32 v4, s47
	s_sub_u32 s0, 0, s46
	s_subb_u32 s1, 0, s47
	v_mac_f32_e32 v3, 0x4f800000, v4
	v_rcp_f32_e32 v3, v3
	v_mul_f32_e32 v3, 0x5f7ffffc, v3
	v_mul_f32_e32 v4, 0x2f800000, v3
	v_trunc_f32_e32 v4, v4
	v_mac_f32_e32 v3, 0xcf800000, v4
	v_cvt_u32_f32_e32 v4, v4
	v_cvt_u32_f32_e32 v3, v3
	v_readfirstlane_b32 s45, v4
	v_readfirstlane_b32 s48, v3
	s_mul_i32 s49, s0, s45
	s_mul_hi_u32 s52, s0, s48
	s_mul_i32 s51, s1, s48
	s_add_i32 s49, s52, s49
	s_mul_i32 s53, s0, s48
	s_add_i32 s49, s49, s51
	s_mul_hi_u32 s51, s48, s49
	s_mul_i32 s52, s48, s49
	s_mul_hi_u32 s48, s48, s53
	s_add_u32 s48, s48, s52
	s_addc_u32 s51, 0, s51
	s_mul_hi_u32 s54, s45, s53
	s_mul_i32 s53, s45, s53
	s_add_u32 s48, s48, s53
	s_mul_hi_u32 s52, s45, s49
	s_addc_u32 s48, s51, s54
	s_addc_u32 s51, s52, 0
	s_mul_i32 s49, s45, s49
	s_add_u32 s48, s48, s49
	s_addc_u32 s49, 0, s51
	v_add_co_u32_e32 v3, vcc, s48, v3
	s_cmp_lg_u64 vcc, 0
	s_addc_u32 s45, s45, s49
	v_readfirstlane_b32 s49, v3
	s_mul_i32 s48, s0, s45
	s_mul_hi_u32 s51, s0, s49
	s_add_i32 s48, s51, s48
	s_mul_i32 s1, s1, s49
	s_add_i32 s48, s48, s1
	s_mul_i32 s0, s0, s49
	s_mul_hi_u32 s51, s45, s0
	s_mul_i32 s52, s45, s0
	s_mul_i32 s54, s49, s48
	s_mul_hi_u32 s0, s49, s0
	s_mul_hi_u32 s53, s49, s48
	s_add_u32 s0, s0, s54
	s_addc_u32 s49, 0, s53
	s_add_u32 s0, s0, s52
	s_mul_hi_u32 s1, s45, s48
	s_addc_u32 s0, s49, s51
	s_addc_u32 s1, s1, 0
	s_mul_i32 s48, s45, s48
	s_add_u32 s0, s0, s48
	s_addc_u32 s1, 0, s1
	v_add_co_u32_e32 v3, vcc, s0, v3
	s_cmp_lg_u64 vcc, 0
	s_addc_u32 s0, s45, s1
	v_readfirstlane_b32 s48, v3
	s_mul_i32 s45, s30, s0
	s_mul_hi_u32 s49, s30, s48
	s_mul_hi_u32 s1, s30, s0
	s_add_u32 s45, s49, s45
	s_addc_u32 s1, 0, s1
	s_mul_hi_u32 s51, s31, s48
	s_mul_i32 s48, s31, s48
	s_add_u32 s45, s45, s48
	s_mul_hi_u32 s49, s31, s0
	s_addc_u32 s1, s1, s51
	s_addc_u32 s45, s49, 0
	s_mul_i32 s0, s31, s0
	s_add_u32 s48, s1, s0
	s_addc_u32 s45, 0, s45
	s_mul_i32 s0, s46, s45
	s_mul_hi_u32 s1, s46, s48
	s_add_i32 s0, s1, s0
	s_mul_i32 s1, s47, s48
	s_add_i32 s49, s0, s1
	s_mul_i32 s1, s46, s48
	v_mov_b32_e32 v3, s1
	s_sub_i32 s0, s31, s49
	v_sub_co_u32_e32 v3, vcc, s30, v3
	s_cmp_lg_u64 vcc, 0
	s_subb_u32 s51, s0, s47
	v_subrev_co_u32_e64 v4, s[0:1], s46, v3
	s_cmp_lg_u64 s[0:1], 0
	s_subb_u32 s0, s51, 0
	s_cmp_ge_u32 s0, s47
	v_readfirstlane_b32 s51, v4
	s_cselect_b32 s1, -1, 0
	s_cmp_ge_u32 s51, s46
	s_cselect_b32 s51, -1, 0
	s_cmp_eq_u32 s0, s47
	s_cselect_b32 s0, s51, s1
	s_add_u32 s1, s48, 1
	s_addc_u32 s51, s45, 0
	s_add_u32 s52, s48, 2
	s_addc_u32 s53, s45, 0
	s_cmp_lg_u32 s0, 0
	s_cselect_b32 s0, s52, s1
	s_cselect_b32 s1, s53, s51
	s_cmp_lg_u64 vcc, 0
	s_subb_u32 s49, s31, s49
	s_cmp_ge_u32 s49, s47
	v_readfirstlane_b32 s52, v3
	s_cselect_b32 s51, -1, 0
	s_cmp_ge_u32 s52, s46
	s_cselect_b32 s52, -1, 0
	s_cmp_eq_u32 s49, s47
	s_cselect_b32 s49, s52, s51
	s_cmp_lg_u32 s49, 0
	s_cselect_b32 s1, s1, s45
	s_cselect_b32 s0, s0, s48
	s_cbranch_execnz .LBB0_7
.LBB0_6:                                ;   in Loop: Header=BB0_4 Depth=1
	v_cvt_f32_u32_e32 v3, s46
	s_sub_i32 s0, 0, s46
	v_rcp_iflag_f32_e32 v3, v3
	v_mul_f32_e32 v3, 0x4f7ffffe, v3
	v_cvt_u32_f32_e32 v3, v3
	v_readfirstlane_b32 s1, v3
	s_mul_i32 s0, s0, s1
	s_mul_hi_u32 s0, s1, s0
	s_add_i32 s1, s1, s0
	s_mul_hi_u32 s0, s30, s1
	s_mul_i32 s45, s0, s46
	s_sub_i32 s45, s30, s45
	s_add_i32 s1, s0, 1
	s_sub_i32 s48, s45, s46
	s_cmp_ge_u32 s45, s46
	s_cselect_b32 s0, s1, s0
	s_cselect_b32 s45, s48, s45
	s_add_i32 s1, s0, 1
	s_cmp_ge_u32 s45, s46
	s_cselect_b32 s0, s1, s0
	s_mov_b32 s1, s44
.LBB0_7:                                ;   in Loop: Header=BB0_4 Depth=1
	s_mul_i32 s37, s46, s37
	s_mul_hi_u32 s45, s46, s36
	s_add_i32 s37, s45, s37
	s_mul_i32 s45, s47, s36
	s_add_i32 s37, s37, s45
	s_mul_i32 s45, s0, s47
	s_mul_hi_u32 s47, s0, s46
	s_load_dwordx2 s[48:49], s[38:39], 0x0
	s_add_i32 s45, s47, s45
	s_mul_i32 s47, s1, s46
	s_mul_i32 s36, s46, s36
	s_add_i32 s45, s45, s47
	s_mul_i32 s46, s0, s46
	s_sub_u32 s46, s30, s46
	s_subb_u32 s45, s31, s45
	s_waitcnt lgkmcnt(0)
	s_mul_i32 s30, s48, s45
	s_mul_hi_u32 s31, s48, s46
	s_add_i32 s47, s31, s30
	s_load_dwordx2 s[30:31], s[4:5], 0x0
	s_mul_i32 s49, s49, s46
	s_add_i32 s47, s47, s49
	s_mul_i32 s48, s48, s46
	s_add_u32 s23, s48, s23
	s_addc_u32 s50, s47, s50
	s_waitcnt lgkmcnt(0)
	s_mul_i32 s45, s30, s45
	s_mul_hi_u32 s47, s30, s46
	s_add_i32 s45, s47, s45
	s_mul_i32 s31, s31, s46
	s_add_i32 s45, s45, s31
	s_mul_i32 s30, s30, s46
	s_add_u32 s28, s30, s28
	s_addc_u32 s29, s45, s29
	s_add_u32 s42, s42, 1
	s_addc_u32 s43, s43, 0
	;; [unrolled: 2-line block ×4, first 2 shown]
	v_cmp_ge_u64_e32 vcc, s[42:43], v[1:2]
	s_add_u32 s40, s40, 8
	s_addc_u32 s41, s41, 0
	s_cbranch_vccnz .LBB0_10
; %bb.8:                                ;   in Loop: Header=BB0_4 Depth=1
	s_mov_b64 s[30:31], s[0:1]
	s_branch .LBB0_4
.LBB0_9:                                ;   in Loop: Header=BB0_4 Depth=1
                                        ; implicit-def: $sgpr0_sgpr1
	s_branch .LBB0_6
.LBB0_10:
	v_mov_b32_e32 v1, s36
	v_mov_b32_e32 v2, s37
	v_cmp_lt_u64_e32 vcc, s[6:7], v[1:2]
	s_mov_b64 s[30:31], 0
	s_cbranch_vccnz .LBB0_12
; %bb.11:
	v_cvt_f32_u32_e32 v1, s36
	s_sub_i32 s0, 0, s36
	v_rcp_iflag_f32_e32 v1, v1
	v_mul_f32_e32 v1, 0x4f7ffffe, v1
	v_cvt_u32_f32_e32 v1, v1
	v_readfirstlane_b32 s1, v1
	s_mul_i32 s0, s0, s1
	s_mul_hi_u32 s0, s1, s0
	s_add_i32 s1, s1, s0
	s_mul_hi_u32 s0, s6, s1
	s_mul_i32 s4, s0, s36
	s_sub_i32 s4, s6, s4
	s_add_i32 s1, s0, 1
	s_sub_i32 s5, s4, s36
	s_cmp_ge_u32 s4, s36
	s_cselect_b32 s0, s1, s0
	s_cselect_b32 s4, s5, s4
	s_add_i32 s1, s0, 1
	s_cmp_ge_u32 s4, s36
	s_cselect_b32 s30, s1, s0
.LBB0_12:
	s_lshl_b64 s[0:1], s[18:19], 3
	s_add_u32 s2, s2, s0
	s_addc_u32 s3, s3, s1
	s_load_dword s2, s[2:3], 0x0
	v_mul_u32_u24_e32 v1, 0x1c72, v0
	v_lshrrev_b32_e32 v36, 16, v1
	v_mul_lo_u16_e32 v1, 9, v36
	v_sub_u16_e32 v35, v0, v1
	s_waitcnt lgkmcnt(0)
	s_mul_i32 s2, s2, s30
	s_add_i32 s18, s2, s23
	s_add_u32 s6, s26, s0
	s_addc_u32 s7, s27, s1
	v_mov_b32_e32 v1, s21
	v_add_co_u32_e32 v33, vcc, s33, v35
	v_addc_co_u32_e32 v34, vcc, 0, v1, vcc
	s_add_u32 s0, s33, 9
	v_mov_b32_e32 v1, s24
	s_addc_u32 s1, s21, 0
	v_mov_b32_e32 v2, s25
	v_cmp_le_u64_e32 vcc, s[0:1], v[1:2]
	s_movk_i32 s0, 0xfb
	v_cmp_lt_u32_e64 s[4:5], s0, v0
	s_movk_i32 s0, 0xfc
	v_cmp_gt_u32_e64 s[2:3], s0, v0
	v_cmp_gt_u64_e64 s[0:1], s[24:25], v[33:34]
	v_mul_lo_u32 v21, s22, v35
	v_mul_lo_u32 v1, s20, v36
	v_cndmask_b32_e64 v2, 0, 1, s[2:3]
	v_cndmask_b32_e64 v3, 0, 1, s[0:1]
	s_or_b64 s[4:5], s[4:5], vcc
	v_cndmask_b32_e64 v2, v3, v2, s[4:5]
	v_and_b32_e32 v2, 1, v2
	v_add_lshl_u32 v1, v21, v1, 4
	v_cmp_eq_u32_e64 s[4:5], 1, v2
	v_cndmask_b32_e64 v13, -1, v1, s[4:5]
	v_add_u32_e32 v1, 0x70, v36
	v_mul_lo_u32 v1, s20, v1
	v_add_u32_e32 v2, 56, v36
	v_mul_lo_u32 v2, s20, v2
	;; [unrolled: 2-line block ×3, first 2 shown]
	v_add_lshl_u32 v1, v21, v1, 4
	v_cndmask_b32_e64 v22, -1, v1, s[4:5]
	v_add_lshl_u32 v1, v21, v2, 4
	v_add_lshl_u32 v2, v21, v3, 4
	v_cndmask_b32_e64 v23, -1, v1, s[4:5]
	v_add_u32_e32 v1, 28, v36
	v_add_u32_e32 v3, 0x8c, v36
	v_mul_lo_u32 v5, s20, v1
	v_mul_lo_u32 v6, s20, v3
	s_lshl_b32 s18, s18, 4
	s_mov_b32 s27, 0x20000
	s_mov_b32 s26, -2
	s_mov_b32 s24, s12
	s_mov_b32 s25, s13
	v_cndmask_b32_e64 v1, -1, v2, s[4:5]
	v_add_lshl_u32 v5, v21, v5, 4
	v_add_lshl_u32 v6, v21, v6, 4
	buffer_load_dwordx4 v[1:4], v1, s[24:27], s18 offen
	v_cndmask_b32_e64 v14, -1, v5, s[4:5]
	v_cndmask_b32_e64 v24, -1, v6, s[4:5]
	buffer_load_dwordx4 v[5:8], v13, s[24:27], s18 offen
	buffer_load_dwordx4 v[9:12], v14, s[24:27], s18 offen
	v_add_u32_e32 v13, 0x54, v36
	v_mul_lo_u32 v25, s20, v13
	v_add_u32_e32 v13, 0xc4, v36
	v_mul_lo_u32 v26, s20, v13
	buffer_load_dwordx4 v[13:16], v22, s[24:27], s18 offen
	buffer_load_dwordx4 v[17:20], v24, s[24:27], s18 offen
	v_add_lshl_u32 v25, v21, v25, 4
	v_cndmask_b32_e64 v34, -1, v25, s[4:5]
	v_add_lshl_u32 v26, v21, v26, 4
	buffer_load_dwordx4 v[21:24], v23, s[24:27], s18 offen
	v_cndmask_b32_e64 v37, -1, v26, s[4:5]
	buffer_load_dwordx4 v[25:28], v34, s[24:27], s18 offen
	buffer_load_dwordx4 v[29:32], v37, s[24:27], s18 offen
	s_mov_b32 s4, 0x667f3bcd
	s_mov_b32 s5, 0xbfe6a09e
	;; [unrolled: 1-line block ×4, first 2 shown]
	v_lshlrev_b32_e32 v34, 4, v35
	s_waitcnt vmcnt(4)
	v_add_f64 v[13:14], v[5:6], -v[13:14]
	v_add_f64 v[15:16], v[7:8], -v[15:16]
	s_waitcnt vmcnt(3)
	v_add_f64 v[17:18], v[9:10], -v[17:18]
	v_add_f64 v[19:20], v[11:12], -v[19:20]
	;; [unrolled: 3-line block ×4, first 2 shown]
	v_fma_f64 v[5:6], v[5:6], 2.0, -v[13:14]
	v_fma_f64 v[7:8], v[7:8], 2.0, -v[15:16]
	v_add_f64 v[41:42], v[15:16], -v[1:2]
	v_fma_f64 v[23:24], v[23:24], 2.0, -v[3:4]
	v_add_f64 v[37:38], v[17:18], v[31:32]
	v_add_f64 v[39:40], v[19:20], -v[29:30]
	v_add_f64 v[3:4], v[13:14], v[3:4]
	v_fma_f64 v[21:22], v[21:22], 2.0, -v[1:2]
	v_fma_f64 v[1:2], v[9:10], 2.0, -v[17:18]
	;; [unrolled: 1-line block ×9, first 2 shown]
	v_add_f64 v[15:16], v[5:6], -v[21:22]
	v_fma_f64 v[29:30], v[37:38], s[12:13], v[3:4]
	v_add_f64 v[11:12], v[1:2], -v[11:12]
	v_add_f64 v[13:14], v[9:10], -v[25:26]
	;; [unrolled: 1-line block ×3, first 2 shown]
	v_fma_f64 v[19:20], v[27:28], s[4:5], v[43:44]
	v_fma_f64 v[21:22], v[17:18], s[4:5], v[45:46]
	v_fma_f64 v[47:48], v[5:6], 2.0, -v[15:16]
	v_fma_f64 v[29:30], v[39:40], s[12:13], v[29:30]
	v_fma_f64 v[1:2], v[1:2], 2.0, -v[11:12]
	v_fma_f64 v[9:10], v[9:10], 2.0, -v[13:14]
	;; [unrolled: 1-line block ×3, first 2 shown]
	v_add_f64 v[23:24], v[25:26], -v[11:12]
	v_fma_f64 v[17:18], v[17:18], s[12:13], v[19:20]
	v_fma_f64 v[19:20], v[27:28], s[4:5], v[21:22]
	;; [unrolled: 1-line block ×3, first 2 shown]
	v_add_f64 v[21:22], v[15:16], v[13:14]
	v_add_f64 v[5:6], v[47:48], -v[1:2]
	v_add_f64 v[7:8], v[49:50], -v[9:10]
	v_fma_f64 v[9:10], v[43:44], 2.0, -v[17:18]
	v_fma_f64 v[11:12], v[45:46], 2.0, -v[19:20]
	v_fma_f64 v[31:32], v[37:38], s[4:5], v[27:28]
	v_fma_f64 v[13:14], v[15:16], 2.0, -v[21:22]
	v_fma_f64 v[15:16], v[25:26], 2.0, -v[23:24]
	;; [unrolled: 1-line block ×6, first 2 shown]
	s_and_saveexec_b64 s[4:5], s[2:3]
	s_cbranch_execz .LBB0_14
; %bb.13:
	v_mul_u32_u24_e32 v37, 0x480, v36
	v_add3_u32 v37, 0, v37, v34
	ds_write_b128 v37, v[1:4]
	ds_write_b128 v37, v[9:12] offset:144
	ds_write_b128 v37, v[13:16] offset:288
	;; [unrolled: 1-line block ×7, first 2 shown]
.LBB0_14:
	s_or_b64 exec, exec, s[4:5]
	s_movk_i32 s2, 0x120
	v_cmp_gt_u32_e64 s[2:3], s2, v0
	s_waitcnt lgkmcnt(0)
	s_barrier
	s_and_saveexec_b64 s[4:5], s[2:3]
	s_cbranch_execz .LBB0_16
; %bb.15:
	v_mul_u32_u24_e32 v1, 0x90, v36
	v_add3_u32 v21, 0, v1, v34
	ds_read_b128 v[1:4], v21
	ds_read_b128 v[9:12], v21 offset:4608
	ds_read_b128 v[13:16], v21 offset:9216
	;; [unrolled: 1-line block ×6, first 2 shown]
.LBB0_16:
	s_or_b64 exec, exec, s[4:5]
	s_waitcnt lgkmcnt(0)
	s_barrier
	s_and_saveexec_b64 s[4:5], s[2:3]
	s_cbranch_execz .LBB0_18
; %bb.17:
	v_and_b32_e32 v29, 7, v36
	v_mul_u32_u24_e32 v30, 6, v29
	v_lshlrev_b32_e32 v32, 4, v30
	global_load_dwordx4 v[37:40], v32, s[34:35] offset:32
	global_load_dwordx4 v[41:44], v32, s[34:35] offset:48
	s_mov_b32 s22, 0xe976ee23
	s_mov_b32 s23, 0x3fe11646
	;; [unrolled: 1-line block ×16, first 2 shown]
	s_waitcnt vmcnt(1)
	v_mul_f64 v[30:31], v[27:28], v[39:40]
	v_mul_f64 v[39:40], v[25:26], v[39:40]
	v_fma_f64 v[30:31], v[25:26], v[37:38], v[30:31]
	v_fma_f64 v[45:46], v[27:28], v[37:38], -v[39:40]
	global_load_dwordx4 v[25:28], v32, s[34:35] offset:16
	global_load_dwordx4 v[37:40], v32, s[34:35]
	s_waitcnt vmcnt(1)
	v_mul_f64 v[47:48], v[15:16], v[27:28]
	v_fma_f64 v[47:48], v[13:14], v[25:26], v[47:48]
	v_mul_f64 v[13:14], v[13:14], v[27:28]
	v_fma_f64 v[49:50], v[15:16], v[25:26], -v[13:14]
	global_load_dwordx4 v[13:16], v32, s[34:35] offset:64
	global_load_dwordx4 v[25:28], v32, s[34:35] offset:80
	v_lshrrev_b32_e32 v32, 3, v36
	v_mul_u32_u24_e32 v32, 56, v32
	v_or_b32_e32 v29, v32, v29
	s_waitcnt vmcnt(1)
	v_mul_f64 v[51:52], v[19:20], v[15:16]
	v_mul_f64 v[15:16], v[17:18], v[15:16]
	v_fma_f64 v[51:52], v[17:18], v[13:14], v[51:52]
	v_fma_f64 v[13:14], v[19:20], v[13:14], -v[15:16]
	v_mul_f64 v[15:16], v[11:12], v[39:40]
	s_waitcnt vmcnt(0)
	v_mul_f64 v[17:18], v[21:22], v[27:28]
	v_mul_f64 v[19:20], v[7:8], v[43:44]
	v_fma_f64 v[15:16], v[9:10], v[37:38], v[15:16]
	v_mul_f64 v[9:10], v[9:10], v[39:40]
	v_fma_f64 v[17:18], v[23:24], v[25:26], -v[17:18]
	v_fma_f64 v[9:10], v[11:12], v[37:38], -v[9:10]
	v_mul_f64 v[11:12], v[23:24], v[27:28]
	v_add_f64 v[23:24], v[47:48], v[51:52]
	v_add_f64 v[37:38], v[47:48], -v[51:52]
	v_mul_u32_u24_e32 v47, 0x90, v29
	v_fma_f64 v[11:12], v[21:22], v[25:26], v[11:12]
	v_mul_f64 v[21:22], v[5:6], v[43:44]
	v_fma_f64 v[5:6], v[5:6], v[41:42], v[19:20]
	v_add_f64 v[19:20], v[49:50], v[13:14]
	v_add_f64 v[13:14], v[49:50], -v[13:14]
	v_add_f64 v[25:26], v[15:16], v[11:12]
	v_fma_f64 v[7:8], v[7:8], v[41:42], -v[21:22]
	v_add_f64 v[21:22], v[9:10], v[17:18]
	v_add_f64 v[27:28], v[5:6], -v[30:31]
	v_add_f64 v[5:6], v[30:31], v[5:6]
	v_add_f64 v[11:12], v[15:16], -v[11:12]
	v_add_f64 v[9:10], v[9:10], -v[17:18]
	v_add_f64 v[41:42], v[23:24], v[25:26]
	v_add_f64 v[39:40], v[45:46], v[7:8]
	v_add_f64 v[30:31], v[19:20], v[21:22]
	v_add_f64 v[7:8], v[7:8], -v[45:46]
	v_add_f64 v[17:18], v[27:28], v[37:38]
	v_add_f64 v[43:44], v[5:6], -v[23:24]
	v_add_f64 v[23:24], v[23:24], -v[25:26]
	v_add_f64 v[15:16], v[39:40], v[30:31]
	v_add_f64 v[29:30], v[5:6], v[41:42]
	v_add_f64 v[31:32], v[27:28], -v[37:38]
	v_add_f64 v[41:42], v[39:40], -v[19:20]
	;; [unrolled: 1-line block ×6, first 2 shown]
	v_add_f64 v[25:26], v[7:8], v[13:14]
	v_add_f64 v[37:38], v[37:38], -v[11:12]
	v_add_f64 v[13:14], v[13:14], -v[9:10]
	;; [unrolled: 1-line block ×4, first 2 shown]
	v_mul_f64 v[31:32], v[31:32], s[22:23]
	v_add_f64 v[11:12], v[17:18], v[11:12]
	v_mul_f64 v[17:18], v[21:22], s[22:23]
	v_mul_f64 v[21:22], v[39:40], s[24:25]
	;; [unrolled: 1-line block ×3, first 2 shown]
	v_add_f64 v[9:10], v[25:26], v[9:10]
	v_mul_f64 v[25:26], v[13:14], s[36:37]
	v_add_f64 v[3:4], v[3:4], v[15:16]
	v_add_f64 v[1:2], v[1:2], v[29:30]
	v_mul_f64 v[5:6], v[5:6], s[24:25]
	v_fma_f64 v[37:38], v[37:38], s[36:37], -v[31:32]
	v_fma_f64 v[31:32], v[27:28], s[12:13], v[31:32]
	v_fma_f64 v[13:14], v[13:14], s[36:37], -v[17:18]
	v_fma_f64 v[17:18], v[7:8], s[12:13], v[17:18]
	s_mov_b32 s13, 0x3fd5d0dc
	v_fma_f64 v[27:28], v[27:28], s[12:13], -v[39:40]
	v_mul_f64 v[39:40], v[41:42], s[18:19]
	v_fma_f64 v[7:8], v[7:8], s[12:13], -v[25:26]
	v_mul_f64 v[25:26], v[43:44], s[18:19]
	v_fma_f64 v[41:42], v[41:42], s[18:19], v[21:22]
	v_fma_f64 v[43:44], v[43:44], s[18:19], v[5:6]
	v_fma_f64 v[21:22], v[19:20], s[26:27], -v[21:22]
	v_fma_f64 v[15:16], v[15:16], s[20:21], v[3:4]
	v_fma_f64 v[29:30], v[29:30], s[20:21], v[1:2]
	v_fma_f64 v[5:6], v[23:24], s[26:27], -v[5:6]
	s_mov_b32 s27, 0x3fe77f67
	v_fma_f64 v[19:20], v[19:20], s[26:27], -v[39:40]
	v_fma_f64 v[23:24], v[23:24], s[26:27], -v[25:26]
	v_fma_f64 v[25:26], v[11:12], s[2:3], v[31:32]
	v_fma_f64 v[31:32], v[9:10], s[2:3], v[17:18]
	;; [unrolled: 1-line block ×4, first 2 shown]
	v_add_f64 v[37:38], v[41:42], v[15:16]
	v_add_f64 v[21:22], v[21:22], v[15:16]
	;; [unrolled: 1-line block ×3, first 2 shown]
	v_fma_f64 v[13:14], v[9:10], s[2:3], v[13:14]
	v_fma_f64 v[9:10], v[9:10], s[2:3], v[7:8]
	v_add_f64 v[5:6], v[5:6], v[29:30]
	v_add_f64 v[19:20], v[19:20], v[15:16]
	;; [unrolled: 1-line block ×5, first 2 shown]
	v_add_f64 v[23:24], v[21:22], -v[27:28]
	v_add_f64 v[27:28], v[37:38], -v[25:26]
	v_add_f64 v[25:26], v[31:32], v[39:40]
	v_add_f64 v[21:22], v[9:10], v[5:6]
	v_add_f64 v[15:16], v[19:20], -v[17:18]
	v_add_f64 v[19:20], v[17:18], v[19:20]
	v_add_f64 v[17:18], v[29:30], -v[13:14]
	v_add_f64 v[13:14], v[13:14], v[29:30]
	v_add_f64 v[9:10], v[5:6], -v[9:10]
	v_add_f64 v[5:6], v[39:40], -v[31:32]
	v_add3_u32 v29, 0, v47, v34
	ds_write_b128 v29, v[1:4]
	ds_write_b128 v29, v[25:28] offset:1152
	ds_write_b128 v29, v[21:24] offset:2304
	;; [unrolled: 1-line block ×6, first 2 shown]
.LBB0_18:
	s_or_b64 exec, exec, s[4:5]
	s_or_b64 s[0:1], vcc, s[0:1]
	s_waitcnt lgkmcnt(0)
	s_barrier
	s_and_saveexec_b64 s[2:3], s[0:1]
	s_cbranch_execz .LBB0_20
; %bb.19:
	v_mul_lo_u16_e32 v1, 37, v36
	v_lshrrev_b16_e32 v1, 11, v1
	v_mul_lo_u16_e32 v1, 56, v1
	v_sub_u16_e32 v1, v36, v1
	v_and_b32_e32 v9, 0xff, v1
	v_mul_u32_u24_e32 v1, 3, v9
	v_lshlrev_b32_e32 v14, 4, v1
	global_load_dwordx4 v[5:8], v14, s[34:35] offset:784
	global_load_dwordx4 v[1:4], v14, s[34:35] offset:768
	;; [unrolled: 1-line block ×3, first 2 shown]
	v_mul_lo_u32 v14, v33, v9
	v_mov_b32_e32 v30, 4
	v_mov_b32_e32 v56, 0x1000
	v_add_u32_e32 v32, 0x70, v9
	v_lshlrev_b32_sdwa v22, v30, v14 dst_sel:DWORD dst_unused:UNUSED_PAD src0_sel:DWORD src1_sel:BYTE_0
	v_bfe_u32 v14, v14, 8, 8
	v_lshl_or_b32 v23, v14, 4, v56
	global_load_dwordx4 v[14:17], v22, s[16:17]
	global_load_dwordx4 v[18:21], v23, s[16:17]
	v_mul_u32_u24_e32 v22, 0x90, v36
	v_add3_u32 v31, 0, v22, v34
	ds_read_b128 v[22:25], v31 offset:16128
	ds_read_b128 v[26:29], v31 offset:24192
	;; [unrolled: 1-line block ×3, first 2 shown]
	ds_read_b128 v[40:43], v31
	v_add_u32_e32 v31, 0xa8, v9
	v_mul_lo_u32 v31, v33, v31
	v_add_u32_e32 v34, 56, v9
	v_mul_lo_u32 v32, v33, v32
	v_mul_lo_u32 v34, v33, v34
	v_lshlrev_b32_sdwa v50, v30, v31 dst_sel:DWORD dst_unused:UNUSED_PAD src0_sel:DWORD src1_sel:BYTE_0
	v_bfe_u32 v31, v31, 8, 8
	v_lshlrev_b32_sdwa v57, v30, v32 dst_sel:DWORD dst_unused:UNUSED_PAD src0_sel:DWORD src1_sel:BYTE_0
	v_bfe_u32 v32, v32, 8, 8
	v_lshl_or_b32 v51, v31, 4, v56
	v_lshlrev_b32_sdwa v58, v30, v34 dst_sel:DWORD dst_unused:UNUSED_PAD src0_sel:DWORD src1_sel:BYTE_0
	v_lshl_or_b32 v59, v32, 4, v56
	global_load_dwordx4 v[30:33], v50, s[16:17]
	global_load_dwordx4 v[44:47], v51, s[16:17]
	v_bfe_u32 v34, v34, 8, 8
	v_lshl_or_b32 v34, v34, 4, v56
	s_waitcnt vmcnt(6) lgkmcnt(3)
	v_mul_f64 v[48:49], v[22:23], v[7:8]
	v_mul_f64 v[7:8], v[24:25], v[7:8]
	s_waitcnt vmcnt(5) lgkmcnt(1)
	v_mul_f64 v[50:51], v[38:39], v[3:4]
	v_mul_f64 v[52:53], v[36:37], v[3:4]
	v_fma_f64 v[54:55], v[24:25], v[5:6], -v[48:49]
	v_fma_f64 v[7:8], v[22:23], v[5:6], v[7:8]
	global_load_dwordx4 v[3:6], v57, s[16:17]
	global_load_dwordx4 v[22:25], v59, s[16:17]
	v_fma_f64 v[56:57], v[36:37], v[1:2], v[50:51]
	v_fma_f64 v[1:2], v[38:39], v[1:2], -v[52:53]
	global_load_dwordx4 v[36:39], v58, s[16:17]
	global_load_dwordx4 v[48:51], v34, s[16:17]
	s_waitcnt vmcnt(8)
	v_mul_f64 v[52:53], v[28:29], v[12:13]
	v_mul_f64 v[12:13], v[26:27], v[12:13]
	s_load_dwordx2 s[0:1], s[6:7], 0x0
	s_waitcnt lgkmcnt(0)
	v_add_f64 v[7:8], v[40:41], -v[7:8]
	s_mul_i32 s1, s1, s30
	v_fma_f64 v[26:27], v[26:27], v[10:11], v[52:53]
	v_fma_f64 v[10:11], v[28:29], v[10:11], -v[12:13]
	v_mad_u64_u32 v[12:13], s[2:3], s10, v35, 0
	s_movk_i32 s2, 0x209
	v_mul_u32_u24_sdwa v0, v0, s2 dst_sel:DWORD dst_unused:UNUSED_PAD src0_sel:WORD_0 src1_sel:DWORD
	v_lshrrev_b32_e32 v0, 18, v0
	v_mul_lo_u16_e32 v34, 0xe0, v0
	v_mov_b32_e32 v0, v13
	v_mad_u64_u32 v[28:29], s[2:3], s11, v35, v[0:1]
	s_waitcnt vmcnt(6)
	v_mul_f64 v[52:53], v[16:17], v[20:21]
	v_mul_f64 v[20:21], v[14:15], v[20:21]
	s_mul_hi_u32 s4, s0, s30
	v_add_u32_e32 v58, v9, v34
	s_mul_i32 s0, s0, s30
	s_add_i32 s1, s4, s1
	v_mad_u64_u32 v[34:35], s[2:3], s8, v58, 0
	v_add_u32_e32 v9, 56, v58
	s_lshl_b64 s[0:1], s[0:1], 4
	v_mov_b32_e32 v13, v28
	v_mad_u64_u32 v[28:29], s[2:3], s8, v9, 0
	s_add_u32 s2, s14, s0
	s_addc_u32 s4, s15, s1
	s_lshl_b64 s[0:1], s[28:29], 4
	v_mov_b32_e32 v0, v35
	s_add_u32 s5, s2, s0
	v_fma_f64 v[14:15], v[14:15], v[18:19], -v[52:53]
	v_fma_f64 v[16:17], v[16:17], v[18:19], v[20:21]
	v_mad_u64_u32 v[18:19], s[2:3], s9, v58, v[0:1]
	s_addc_u32 s0, s4, s1
	v_mov_b32_e32 v0, v29
	v_mov_b32_e32 v29, s0
	v_mad_u64_u32 v[19:20], s[0:1], s9, v9, v[0:1]
	v_add_f64 v[20:21], v[42:43], -v[54:55]
	v_add_f64 v[26:27], v[56:57], -v[26:27]
	;; [unrolled: 1-line block ×3, first 2 shown]
	v_lshlrev_b64 v[12:13], 4, v[12:13]
	v_fma_f64 v[40:41], v[40:41], 2.0, -v[7:8]
	v_add_co_u32_e32 v59, vcc, s5, v12
	s_waitcnt vmcnt(4)
	v_mul_f64 v[52:53], v[32:33], v[46:47]
	v_fma_f64 v[11:12], v[42:43], 2.0, -v[20:21]
	v_fma_f64 v[42:43], v[56:57], 2.0, -v[26:27]
	;; [unrolled: 1-line block ×3, first 2 shown]
	v_mul_f64 v[46:47], v[30:31], v[46:47]
	v_addc_co_u32_e32 v60, vcc, v29, v13, vcc
	v_mov_b32_e32 v35, v18
	v_mov_b32_e32 v29, v19
	v_add_f64 v[9:10], v[7:8], v[9:10]
	v_add_f64 v[42:43], v[40:41], -v[42:43]
	v_add_f64 v[54:55], v[11:12], -v[0:1]
	v_fma_f64 v[30:31], v[30:31], v[44:45], -v[52:53]
	v_fma_f64 v[0:1], v[32:33], v[44:45], v[46:47]
	v_add_f64 v[26:27], v[20:21], -v[26:27]
	v_lshlrev_b64 v[34:35], 4, v[34:35]
	v_fma_f64 v[40:41], v[40:41], 2.0, -v[42:43]
	v_fma_f64 v[11:12], v[11:12], 2.0, -v[54:55]
	;; [unrolled: 1-line block ×3, first 2 shown]
	s_waitcnt vmcnt(2)
	v_mul_f64 v[18:19], v[5:6], v[24:25]
	v_mul_f64 v[24:25], v[3:4], v[24:25]
	s_waitcnt vmcnt(0)
	v_mul_f64 v[44:45], v[36:37], v[50:51]
	v_mul_f64 v[32:33], v[38:39], v[50:51]
	v_fma_f64 v[18:19], v[3:4], v[22:23], -v[18:19]
	v_fma_f64 v[2:3], v[5:6], v[22:23], v[24:25]
	v_fma_f64 v[24:25], v[7:8], 2.0, -v[9:10]
	v_mul_f64 v[6:7], v[40:41], v[16:17]
	v_mul_f64 v[16:17], v[11:12], v[16:17]
	v_fma_f64 v[4:5], v[38:39], v[48:49], v[44:45]
	v_fma_f64 v[22:23], v[36:37], v[48:49], -v[32:33]
	v_mul_f64 v[36:37], v[26:27], v[0:1]
	v_mul_f64 v[32:33], v[9:10], v[0:1]
	;; [unrolled: 1-line block ×4, first 2 shown]
	v_fma_f64 v[2:3], v[11:12], v[14:15], -v[6:7]
	v_fma_f64 v[0:1], v[40:41], v[14:15], v[16:17]
	v_mul_f64 v[46:47], v[24:25], v[4:5]
	v_mul_f64 v[48:49], v[20:21], v[4:5]
	v_fma_f64 v[4:5], v[9:10], v[30:31], v[36:37]
	v_add_co_u32_e32 v16, vcc, v59, v34
	v_addc_co_u32_e32 v17, vcc, v60, v35, vcc
	global_store_dwordx4 v[16:17], v[0:3], off
	v_add_u32_e32 v16, 0x70, v58
	v_mad_u64_u32 v[2:3], s[0:1], s8, v16, 0
	v_fma_f64 v[14:15], v[20:21], v[22:23], -v[46:47]
	v_fma_f64 v[12:13], v[24:25], v[22:23], v[48:49]
	v_fma_f64 v[10:11], v[54:55], v[18:19], -v[38:39]
	v_fma_f64 v[8:9], v[42:43], v[18:19], v[44:45]
	v_mad_u64_u32 v[16:17], s[0:1], s9, v16, v[3:4]
	v_add_u32_e32 v19, 0xa8, v58
	v_lshlrev_b64 v[0:1], 4, v[28:29]
	v_mad_u64_u32 v[17:18], s[0:1], s8, v19, 0
	v_add_co_u32_e32 v0, vcc, v59, v0
	v_addc_co_u32_e32 v1, vcc, v60, v1, vcc
	v_mov_b32_e32 v3, v16
	global_store_dwordx4 v[0:1], v[12:15], off
	v_lshlrev_b64 v[0:1], 4, v[2:3]
	v_mov_b32_e32 v2, v18
	v_mad_u64_u32 v[2:3], s[0:1], s9, v19, v[2:3]
	v_fma_f64 v[6:7], v[26:27], v[30:31], -v[32:33]
	v_add_co_u32_e32 v0, vcc, v59, v0
	v_addc_co_u32_e32 v1, vcc, v60, v1, vcc
	v_mov_b32_e32 v18, v2
	global_store_dwordx4 v[0:1], v[8:11], off
	v_lshlrev_b64 v[0:1], 4, v[17:18]
	v_add_co_u32_e32 v0, vcc, v59, v0
	v_addc_co_u32_e32 v1, vcc, v60, v1, vcc
	global_store_dwordx4 v[0:1], v[4:7], off
.LBB0_20:
	s_endpgm
	.section	.rodata,"a",@progbits
	.p2align	6, 0x0
	.amdhsa_kernel fft_rtc_back_len224_factors_8_7_4_wgs_504_tpt_56_dp_op_CI_CI_sbcc_twdbase8_2step_dirReg_intrinsicRead
		.amdhsa_group_segment_fixed_size 0
		.amdhsa_private_segment_fixed_size 0
		.amdhsa_kernarg_size 112
		.amdhsa_user_sgpr_count 6
		.amdhsa_user_sgpr_private_segment_buffer 1
		.amdhsa_user_sgpr_dispatch_ptr 0
		.amdhsa_user_sgpr_queue_ptr 0
		.amdhsa_user_sgpr_kernarg_segment_ptr 1
		.amdhsa_user_sgpr_dispatch_id 0
		.amdhsa_user_sgpr_flat_scratch_init 0
		.amdhsa_user_sgpr_private_segment_size 0
		.amdhsa_uses_dynamic_stack 0
		.amdhsa_system_sgpr_private_segment_wavefront_offset 0
		.amdhsa_system_sgpr_workgroup_id_x 1
		.amdhsa_system_sgpr_workgroup_id_y 0
		.amdhsa_system_sgpr_workgroup_id_z 0
		.amdhsa_system_sgpr_workgroup_info 0
		.amdhsa_system_vgpr_workitem_id 0
		.amdhsa_next_free_vgpr 61
		.amdhsa_next_free_sgpr 55
		.amdhsa_reserve_vcc 1
		.amdhsa_reserve_flat_scratch 0
		.amdhsa_float_round_mode_32 0
		.amdhsa_float_round_mode_16_64 0
		.amdhsa_float_denorm_mode_32 3
		.amdhsa_float_denorm_mode_16_64 3
		.amdhsa_dx10_clamp 1
		.amdhsa_ieee_mode 1
		.amdhsa_fp16_overflow 0
		.amdhsa_exception_fp_ieee_invalid_op 0
		.amdhsa_exception_fp_denorm_src 0
		.amdhsa_exception_fp_ieee_div_zero 0
		.amdhsa_exception_fp_ieee_overflow 0
		.amdhsa_exception_fp_ieee_underflow 0
		.amdhsa_exception_fp_ieee_inexact 0
		.amdhsa_exception_int_div_zero 0
	.end_amdhsa_kernel
	.text
.Lfunc_end0:
	.size	fft_rtc_back_len224_factors_8_7_4_wgs_504_tpt_56_dp_op_CI_CI_sbcc_twdbase8_2step_dirReg_intrinsicRead, .Lfunc_end0-fft_rtc_back_len224_factors_8_7_4_wgs_504_tpt_56_dp_op_CI_CI_sbcc_twdbase8_2step_dirReg_intrinsicRead
                                        ; -- End function
	.section	.AMDGPU.csdata,"",@progbits
; Kernel info:
; codeLenInByte = 5060
; NumSgprs: 59
; NumVgprs: 61
; ScratchSize: 0
; MemoryBound: 0
; FloatMode: 240
; IeeeMode: 1
; LDSByteSize: 0 bytes/workgroup (compile time only)
; SGPRBlocks: 7
; VGPRBlocks: 15
; NumSGPRsForWavesPerEU: 59
; NumVGPRsForWavesPerEU: 61
; Occupancy: 4
; WaveLimiterHint : 1
; COMPUTE_PGM_RSRC2:SCRATCH_EN: 0
; COMPUTE_PGM_RSRC2:USER_SGPR: 6
; COMPUTE_PGM_RSRC2:TRAP_HANDLER: 0
; COMPUTE_PGM_RSRC2:TGID_X_EN: 1
; COMPUTE_PGM_RSRC2:TGID_Y_EN: 0
; COMPUTE_PGM_RSRC2:TGID_Z_EN: 0
; COMPUTE_PGM_RSRC2:TIDIG_COMP_CNT: 0
	.type	__hip_cuid_cf6b0b061344b0b7,@object ; @__hip_cuid_cf6b0b061344b0b7
	.section	.bss,"aw",@nobits
	.globl	__hip_cuid_cf6b0b061344b0b7
__hip_cuid_cf6b0b061344b0b7:
	.byte	0                               ; 0x0
	.size	__hip_cuid_cf6b0b061344b0b7, 1

	.ident	"AMD clang version 19.0.0git (https://github.com/RadeonOpenCompute/llvm-project roc-6.4.0 25133 c7fe45cf4b819c5991fe208aaa96edf142730f1d)"
	.section	".note.GNU-stack","",@progbits
	.addrsig
	.addrsig_sym __hip_cuid_cf6b0b061344b0b7
	.amdgpu_metadata
---
amdhsa.kernels:
  - .args:
      - .actual_access:  read_only
        .address_space:  global
        .offset:         0
        .size:           8
        .value_kind:     global_buffer
      - .address_space:  global
        .offset:         8
        .size:           8
        .value_kind:     global_buffer
      - .offset:         16
        .size:           8
        .value_kind:     by_value
      - .actual_access:  read_only
        .address_space:  global
        .offset:         24
        .size:           8
        .value_kind:     global_buffer
      - .actual_access:  read_only
        .address_space:  global
        .offset:         32
        .size:           8
        .value_kind:     global_buffer
      - .actual_access:  read_only
        .address_space:  global
        .offset:         40
        .size:           8
        .value_kind:     global_buffer
      - .offset:         48
        .size:           8
        .value_kind:     by_value
      - .actual_access:  read_only
        .address_space:  global
        .offset:         56
        .size:           8
        .value_kind:     global_buffer
      - .actual_access:  read_only
        .address_space:  global
        .offset:         64
        .size:           8
        .value_kind:     global_buffer
      - .offset:         72
        .size:           4
        .value_kind:     by_value
      - .actual_access:  read_only
        .address_space:  global
        .offset:         80
        .size:           8
        .value_kind:     global_buffer
      - .actual_access:  read_only
        .address_space:  global
        .offset:         88
        .size:           8
        .value_kind:     global_buffer
      - .address_space:  global
        .offset:         96
        .size:           8
        .value_kind:     global_buffer
      - .actual_access:  write_only
        .address_space:  global
        .offset:         104
        .size:           8
        .value_kind:     global_buffer
    .group_segment_fixed_size: 0
    .kernarg_segment_align: 8
    .kernarg_segment_size: 112
    .language:       OpenCL C
    .language_version:
      - 2
      - 0
    .max_flat_workgroup_size: 504
    .name:           fft_rtc_back_len224_factors_8_7_4_wgs_504_tpt_56_dp_op_CI_CI_sbcc_twdbase8_2step_dirReg_intrinsicRead
    .private_segment_fixed_size: 0
    .sgpr_count:     59
    .sgpr_spill_count: 0
    .symbol:         fft_rtc_back_len224_factors_8_7_4_wgs_504_tpt_56_dp_op_CI_CI_sbcc_twdbase8_2step_dirReg_intrinsicRead.kd
    .uniform_work_group_size: 1
    .uses_dynamic_stack: false
    .vgpr_count:     61
    .vgpr_spill_count: 0
    .wavefront_size: 64
amdhsa.target:   amdgcn-amd-amdhsa--gfx906
amdhsa.version:
  - 1
  - 2
...

	.end_amdgpu_metadata
